;; amdgpu-corpus repo=ROCm/rocFFT kind=compiled arch=gfx1100 opt=O3
	.text
	.amdgcn_target "amdgcn-amd-amdhsa--gfx1100"
	.amdhsa_code_object_version 6
	.protected	fft_rtc_back_len160_factors_16_10_wgs_256_tpt_16_halfLds_sp_op_CI_CI_sbrr_dirReg ; -- Begin function fft_rtc_back_len160_factors_16_10_wgs_256_tpt_16_halfLds_sp_op_CI_CI_sbrr_dirReg
	.globl	fft_rtc_back_len160_factors_16_10_wgs_256_tpt_16_halfLds_sp_op_CI_CI_sbrr_dirReg
	.p2align	8
	.type	fft_rtc_back_len160_factors_16_10_wgs_256_tpt_16_halfLds_sp_op_CI_CI_sbrr_dirReg,@function
fft_rtc_back_len160_factors_16_10_wgs_256_tpt_16_halfLds_sp_op_CI_CI_sbrr_dirReg: ; @fft_rtc_back_len160_factors_16_10_wgs_256_tpt_16_halfLds_sp_op_CI_CI_sbrr_dirReg
; %bb.0:
	s_clause 0x2
	s_load_b128 s[16:19], s[0:1], 0x18
	s_load_b128 s[8:11], s[0:1], 0x0
	;; [unrolled: 1-line block ×3, first 2 shown]
	v_lshrrev_b32_e32 v13, 4, v0
	v_mov_b32_e32 v5, 0
	v_mov_b32_e32 v7, 0
	;; [unrolled: 1-line block ×3, first 2 shown]
	s_waitcnt lgkmcnt(0)
	s_load_b64 s[20:21], s[16:17], 0x0
	s_load_b64 s[12:13], s[18:19], 0x0
	v_cmp_lt_u64_e64 s2, s[10:11], 2
	v_lshl_or_b32 v9, s15, 4, v13
	v_mov_b32_e32 v10, v5
	s_delay_alu instid0(VALU_DEP_3)
	s_and_b32 vcc_lo, exec_lo, s2
	s_cbranch_vccnz .LBB0_8
; %bb.1:
	s_load_b64 s[2:3], s[0:1], 0x10
	v_mov_b32_e32 v7, 0
	v_mov_b32_e32 v8, 0
	s_add_u32 s14, s18, 8
	s_addc_u32 s15, s19, 0
	s_add_u32 s22, s16, 8
	s_delay_alu instid0(VALU_DEP_1)
	v_dual_mov_b32 v1, v7 :: v_dual_mov_b32 v2, v8
	s_addc_u32 s23, s17, 0
	s_mov_b64 s[26:27], 1
	s_waitcnt lgkmcnt(0)
	s_add_u32 s24, s2, 8
	s_addc_u32 s25, s3, 0
.LBB0_2:                                ; =>This Inner Loop Header: Depth=1
	s_load_b64 s[28:29], s[24:25], 0x0
                                        ; implicit-def: $vgpr3_vgpr4
	s_mov_b32 s2, exec_lo
	s_waitcnt lgkmcnt(0)
	v_or_b32_e32 v6, s29, v10
	s_delay_alu instid0(VALU_DEP_1)
	v_cmpx_ne_u64_e32 0, v[5:6]
	s_xor_b32 s3, exec_lo, s2
	s_cbranch_execz .LBB0_4
; %bb.3:                                ;   in Loop: Header=BB0_2 Depth=1
	v_cvt_f32_u32_e32 v3, s28
	v_cvt_f32_u32_e32 v4, s29
	s_sub_u32 s2, 0, s28
	s_subb_u32 s30, 0, s29
	s_delay_alu instid0(VALU_DEP_1) | instskip(NEXT) | instid1(VALU_DEP_1)
	v_fmac_f32_e32 v3, 0x4f800000, v4
	v_rcp_f32_e32 v3, v3
	s_waitcnt_depctr 0xfff
	v_mul_f32_e32 v3, 0x5f7ffffc, v3
	s_delay_alu instid0(VALU_DEP_1) | instskip(NEXT) | instid1(VALU_DEP_1)
	v_mul_f32_e32 v4, 0x2f800000, v3
	v_trunc_f32_e32 v4, v4
	s_delay_alu instid0(VALU_DEP_1) | instskip(SKIP_1) | instid1(VALU_DEP_2)
	v_fmac_f32_e32 v3, 0xcf800000, v4
	v_cvt_u32_f32_e32 v4, v4
	v_cvt_u32_f32_e32 v3, v3
	s_delay_alu instid0(VALU_DEP_2) | instskip(NEXT) | instid1(VALU_DEP_2)
	v_mul_lo_u32 v6, s2, v4
	v_mul_hi_u32 v11, s2, v3
	v_mul_lo_u32 v12, s30, v3
	s_delay_alu instid0(VALU_DEP_2) | instskip(SKIP_1) | instid1(VALU_DEP_2)
	v_add_nc_u32_e32 v6, v11, v6
	v_mul_lo_u32 v11, s2, v3
	v_add_nc_u32_e32 v6, v6, v12
	s_delay_alu instid0(VALU_DEP_2) | instskip(NEXT) | instid1(VALU_DEP_2)
	v_mul_hi_u32 v12, v3, v11
	v_mul_lo_u32 v14, v3, v6
	v_mul_hi_u32 v15, v3, v6
	v_mul_hi_u32 v16, v4, v11
	v_mul_lo_u32 v11, v4, v11
	v_mul_hi_u32 v17, v4, v6
	v_mul_lo_u32 v6, v4, v6
	v_add_co_u32 v12, vcc_lo, v12, v14
	v_add_co_ci_u32_e32 v14, vcc_lo, 0, v15, vcc_lo
	s_delay_alu instid0(VALU_DEP_2) | instskip(NEXT) | instid1(VALU_DEP_2)
	v_add_co_u32 v11, vcc_lo, v12, v11
	v_add_co_ci_u32_e32 v11, vcc_lo, v14, v16, vcc_lo
	v_add_co_ci_u32_e32 v12, vcc_lo, 0, v17, vcc_lo
	s_delay_alu instid0(VALU_DEP_2) | instskip(NEXT) | instid1(VALU_DEP_2)
	v_add_co_u32 v6, vcc_lo, v11, v6
	v_add_co_ci_u32_e32 v11, vcc_lo, 0, v12, vcc_lo
	s_delay_alu instid0(VALU_DEP_2) | instskip(NEXT) | instid1(VALU_DEP_2)
	v_add_co_u32 v3, vcc_lo, v3, v6
	v_add_co_ci_u32_e32 v4, vcc_lo, v4, v11, vcc_lo
	s_delay_alu instid0(VALU_DEP_2) | instskip(SKIP_1) | instid1(VALU_DEP_3)
	v_mul_hi_u32 v6, s2, v3
	v_mul_lo_u32 v12, s30, v3
	v_mul_lo_u32 v11, s2, v4
	s_delay_alu instid0(VALU_DEP_1) | instskip(SKIP_1) | instid1(VALU_DEP_2)
	v_add_nc_u32_e32 v6, v6, v11
	v_mul_lo_u32 v11, s2, v3
	v_add_nc_u32_e32 v6, v6, v12
	s_delay_alu instid0(VALU_DEP_2) | instskip(NEXT) | instid1(VALU_DEP_2)
	v_mul_hi_u32 v12, v3, v11
	v_mul_lo_u32 v14, v3, v6
	v_mul_hi_u32 v15, v3, v6
	v_mul_hi_u32 v16, v4, v11
	v_mul_lo_u32 v11, v4, v11
	v_mul_hi_u32 v17, v4, v6
	v_mul_lo_u32 v6, v4, v6
	v_add_co_u32 v12, vcc_lo, v12, v14
	v_add_co_ci_u32_e32 v14, vcc_lo, 0, v15, vcc_lo
	s_delay_alu instid0(VALU_DEP_2) | instskip(NEXT) | instid1(VALU_DEP_2)
	v_add_co_u32 v11, vcc_lo, v12, v11
	v_add_co_ci_u32_e32 v11, vcc_lo, v14, v16, vcc_lo
	v_add_co_ci_u32_e32 v12, vcc_lo, 0, v17, vcc_lo
	s_delay_alu instid0(VALU_DEP_2) | instskip(NEXT) | instid1(VALU_DEP_2)
	v_add_co_u32 v6, vcc_lo, v11, v6
	v_add_co_ci_u32_e32 v11, vcc_lo, 0, v12, vcc_lo
	s_delay_alu instid0(VALU_DEP_2) | instskip(NEXT) | instid1(VALU_DEP_2)
	v_add_co_u32 v6, vcc_lo, v3, v6
	v_add_co_ci_u32_e32 v16, vcc_lo, v4, v11, vcc_lo
	s_delay_alu instid0(VALU_DEP_2) | instskip(SKIP_1) | instid1(VALU_DEP_3)
	v_mul_hi_u32 v17, v9, v6
	v_mad_u64_u32 v[11:12], null, v10, v6, 0
	v_mad_u64_u32 v[3:4], null, v9, v16, 0
	;; [unrolled: 1-line block ×3, first 2 shown]
	s_delay_alu instid0(VALU_DEP_2) | instskip(NEXT) | instid1(VALU_DEP_3)
	v_add_co_u32 v3, vcc_lo, v17, v3
	v_add_co_ci_u32_e32 v4, vcc_lo, 0, v4, vcc_lo
	s_delay_alu instid0(VALU_DEP_2) | instskip(NEXT) | instid1(VALU_DEP_2)
	v_add_co_u32 v3, vcc_lo, v3, v11
	v_add_co_ci_u32_e32 v3, vcc_lo, v4, v12, vcc_lo
	v_add_co_ci_u32_e32 v4, vcc_lo, 0, v15, vcc_lo
	s_delay_alu instid0(VALU_DEP_2) | instskip(NEXT) | instid1(VALU_DEP_2)
	v_add_co_u32 v6, vcc_lo, v3, v14
	v_add_co_ci_u32_e32 v11, vcc_lo, 0, v4, vcc_lo
	s_delay_alu instid0(VALU_DEP_2) | instskip(SKIP_1) | instid1(VALU_DEP_3)
	v_mul_lo_u32 v12, s29, v6
	v_mad_u64_u32 v[3:4], null, s28, v6, 0
	v_mul_lo_u32 v14, s28, v11
	s_delay_alu instid0(VALU_DEP_2) | instskip(NEXT) | instid1(VALU_DEP_2)
	v_sub_co_u32 v3, vcc_lo, v9, v3
	v_add3_u32 v4, v4, v14, v12
	s_delay_alu instid0(VALU_DEP_1) | instskip(NEXT) | instid1(VALU_DEP_1)
	v_sub_nc_u32_e32 v12, v10, v4
	v_subrev_co_ci_u32_e64 v12, s2, s29, v12, vcc_lo
	v_add_co_u32 v14, s2, v6, 2
	s_delay_alu instid0(VALU_DEP_1) | instskip(SKIP_3) | instid1(VALU_DEP_3)
	v_add_co_ci_u32_e64 v15, s2, 0, v11, s2
	v_sub_co_u32 v16, s2, v3, s28
	v_sub_co_ci_u32_e32 v4, vcc_lo, v10, v4, vcc_lo
	v_subrev_co_ci_u32_e64 v12, s2, 0, v12, s2
	v_cmp_le_u32_e32 vcc_lo, s28, v16
	s_delay_alu instid0(VALU_DEP_3) | instskip(SKIP_1) | instid1(VALU_DEP_4)
	v_cmp_eq_u32_e64 s2, s29, v4
	v_cndmask_b32_e64 v16, 0, -1, vcc_lo
	v_cmp_le_u32_e32 vcc_lo, s29, v12
	v_cndmask_b32_e64 v17, 0, -1, vcc_lo
	v_cmp_le_u32_e32 vcc_lo, s28, v3
	;; [unrolled: 2-line block ×3, first 2 shown]
	v_cndmask_b32_e64 v18, 0, -1, vcc_lo
	v_cmp_eq_u32_e32 vcc_lo, s29, v12
	s_delay_alu instid0(VALU_DEP_2) | instskip(SKIP_3) | instid1(VALU_DEP_3)
	v_cndmask_b32_e64 v3, v18, v3, s2
	v_cndmask_b32_e32 v12, v17, v16, vcc_lo
	v_add_co_u32 v16, vcc_lo, v6, 1
	v_add_co_ci_u32_e32 v17, vcc_lo, 0, v11, vcc_lo
	v_cmp_ne_u32_e32 vcc_lo, 0, v12
	s_delay_alu instid0(VALU_DEP_2) | instskip(NEXT) | instid1(VALU_DEP_4)
	v_cndmask_b32_e32 v4, v17, v15, vcc_lo
	v_cndmask_b32_e32 v12, v16, v14, vcc_lo
	v_cmp_ne_u32_e32 vcc_lo, 0, v3
	s_delay_alu instid0(VALU_DEP_3) | instskip(NEXT) | instid1(VALU_DEP_3)
	v_cndmask_b32_e32 v4, v11, v4, vcc_lo
	v_cndmask_b32_e32 v3, v6, v12, vcc_lo
.LBB0_4:                                ;   in Loop: Header=BB0_2 Depth=1
	s_and_not1_saveexec_b32 s2, s3
	s_cbranch_execz .LBB0_6
; %bb.5:                                ;   in Loop: Header=BB0_2 Depth=1
	v_cvt_f32_u32_e32 v3, s28
	s_sub_i32 s3, 0, s28
	s_delay_alu instid0(VALU_DEP_1) | instskip(SKIP_2) | instid1(VALU_DEP_1)
	v_rcp_iflag_f32_e32 v3, v3
	s_waitcnt_depctr 0xfff
	v_mul_f32_e32 v3, 0x4f7ffffe, v3
	v_cvt_u32_f32_e32 v3, v3
	s_delay_alu instid0(VALU_DEP_1) | instskip(NEXT) | instid1(VALU_DEP_1)
	v_mul_lo_u32 v4, s3, v3
	v_mul_hi_u32 v4, v3, v4
	s_delay_alu instid0(VALU_DEP_1) | instskip(NEXT) | instid1(VALU_DEP_1)
	v_add_nc_u32_e32 v3, v3, v4
	v_mul_hi_u32 v3, v9, v3
	s_delay_alu instid0(VALU_DEP_1) | instskip(SKIP_1) | instid1(VALU_DEP_2)
	v_mul_lo_u32 v4, v3, s28
	v_add_nc_u32_e32 v6, 1, v3
	v_sub_nc_u32_e32 v4, v9, v4
	s_delay_alu instid0(VALU_DEP_1) | instskip(SKIP_1) | instid1(VALU_DEP_2)
	v_subrev_nc_u32_e32 v11, s28, v4
	v_cmp_le_u32_e32 vcc_lo, s28, v4
	v_dual_cndmask_b32 v4, v4, v11 :: v_dual_cndmask_b32 v3, v3, v6
	s_delay_alu instid0(VALU_DEP_1) | instskip(NEXT) | instid1(VALU_DEP_2)
	v_cmp_le_u32_e32 vcc_lo, s28, v4
	v_add_nc_u32_e32 v6, 1, v3
	s_delay_alu instid0(VALU_DEP_1)
	v_dual_mov_b32 v4, v5 :: v_dual_cndmask_b32 v3, v3, v6
.LBB0_6:                                ;   in Loop: Header=BB0_2 Depth=1
	s_or_b32 exec_lo, exec_lo, s2
	s_delay_alu instid0(VALU_DEP_1) | instskip(NEXT) | instid1(VALU_DEP_2)
	v_mul_lo_u32 v6, v4, s28
	v_mul_lo_u32 v14, v3, s29
	s_load_b64 s[2:3], s[22:23], 0x0
	v_mad_u64_u32 v[11:12], null, v3, s28, 0
	s_load_b64 s[28:29], s[14:15], 0x0
	s_add_u32 s26, s26, 1
	s_addc_u32 s27, s27, 0
	s_add_u32 s14, s14, 8
	s_addc_u32 s15, s15, 0
	s_add_u32 s22, s22, 8
	s_delay_alu instid0(VALU_DEP_1) | instskip(SKIP_3) | instid1(VALU_DEP_2)
	v_add3_u32 v6, v12, v14, v6
	v_sub_co_u32 v14, vcc_lo, v9, v11
	s_addc_u32 s23, s23, 0
	s_add_u32 s24, s24, 8
	v_sub_co_ci_u32_e32 v6, vcc_lo, v10, v6, vcc_lo
	s_addc_u32 s25, s25, 0
	s_waitcnt lgkmcnt(0)
	s_delay_alu instid0(VALU_DEP_1)
	v_mul_lo_u32 v15, s2, v6
	v_mul_lo_u32 v16, s3, v14
	v_mad_u64_u32 v[9:10], null, s2, v14, v[7:8]
	v_mul_lo_u32 v6, s28, v6
	v_mul_lo_u32 v17, s29, v14
	v_mad_u64_u32 v[11:12], null, s28, v14, v[1:2]
	v_cmp_ge_u64_e64 s2, s[26:27], s[10:11]
	v_add3_u32 v8, v16, v10, v15
	v_mov_b32_e32 v7, v9
	s_delay_alu instid0(VALU_DEP_4)
	v_add3_u32 v2, v17, v12, v6
	v_mov_b32_e32 v1, v11
	s_and_b32 vcc_lo, exec_lo, s2
	s_cbranch_vccnz .LBB0_9
; %bb.7:                                ;   in Loop: Header=BB0_2 Depth=1
	v_dual_mov_b32 v10, v4 :: v_dual_mov_b32 v9, v3
	s_branch .LBB0_2
.LBB0_8:
	v_dual_mov_b32 v1, v7 :: v_dual_mov_b32 v2, v8
	s_delay_alu instid0(VALU_DEP_2)
	v_dual_mov_b32 v3, v9 :: v_dual_mov_b32 v4, v10
.LBB0_9:
	s_load_b64 s[0:1], s[0:1], 0x28
	s_lshl_b64 s[10:11], s[10:11], 3
	v_dual_mov_b32 v5, 0 :: v_dual_and_b32 v0, 15, v0
	s_add_u32 s2, s18, s10
	s_addc_u32 s3, s19, s11
	v_dual_mov_b32 v6, 0 :: v_dual_mov_b32 v11, 0
	s_load_b64 s[2:3], s[2:3], 0x0
	v_dual_mov_b32 v40, 0 :: v_dual_mov_b32 v19, 0
	v_dual_mov_b32 v12, 0 :: v_dual_mov_b32 v9, 0
	;; [unrolled: 1-line block ×6, first 2 shown]
	s_waitcnt lgkmcnt(0)
	v_cmp_gt_u64_e32 vcc_lo, s[0:1], v[3:4]
	v_mov_b32_e32 v24, 0
	v_mov_b32_e32 v20, 0
                                        ; implicit-def: $vgpr17
                                        ; implicit-def: $vgpr31
                                        ; implicit-def: $vgpr35
                                        ; implicit-def: $vgpr27
                                        ; implicit-def: $vgpr39
                                        ; implicit-def: $vgpr33
                                        ; implicit-def: $vgpr37
                                        ; implicit-def: $vgpr29
	s_and_saveexec_b32 s1, vcc_lo
	s_cbranch_execz .LBB0_13
; %bb.10:
	v_cmp_gt_u32_e64 s0, 10, v0
	v_dual_mov_b32 v20, 0 :: v_dual_mov_b32 v21, 0
	v_dual_mov_b32 v24, 0 :: v_dual_mov_b32 v25, 0
	v_dual_mov_b32 v22, 0 :: v_dual_mov_b32 v23, 0
	v_dual_mov_b32 v14, 0 :: v_dual_mov_b32 v15, 0
	v_dual_mov_b32 v9, 0 :: v_dual_mov_b32 v10, 0
	v_dual_mov_b32 v18, 0 :: v_dual_mov_b32 v19, 0
	v_dual_mov_b32 v11, 0 :: v_dual_mov_b32 v12, 0
	v_dual_mov_b32 v5, 0 :: v_dual_mov_b32 v6, 0
                                        ; implicit-def: $vgpr28
                                        ; implicit-def: $vgpr36
                                        ; implicit-def: $vgpr32
                                        ; implicit-def: $vgpr38
                                        ; implicit-def: $vgpr26
                                        ; implicit-def: $vgpr34
                                        ; implicit-def: $vgpr30
                                        ; implicit-def: $vgpr16
	s_and_saveexec_b32 s14, s0
	s_cbranch_execz .LBB0_12
; %bb.11:
	s_add_u32 s10, s16, s10
	s_addc_u32 s11, s17, s11
	v_mad_u64_u32 v[5:6], null, s20, v0, 0
	s_load_b64 s[10:11], s[10:11], 0x0
	v_lshlrev_b64 v[7:8], 3, v[7:8]
	v_add_nc_u32_e32 v26, 40, v0
	v_add_nc_u32_e32 v23, 10, v0
	;; [unrolled: 1-line block ×3, first 2 shown]
	v_or_b32_e32 v31, 0x50, v0
	v_add_nc_u32_e32 v40, 0x82, v0
	v_mad_u64_u32 v[18:19], null, s21, v0, v[6:7]
	v_mad_u64_u32 v[19:20], null, s20, v26, 0
	v_add_nc_u32_e32 v24, 20, v0
	v_mad_u64_u32 v[9:10], null, s20, v23, 0
	v_mad_u64_u32 v[29:30], null, s20, v31, 0
	s_delay_alu instid0(VALU_DEP_3)
	v_mad_u64_u32 v[11:12], null, s20, v24, 0
	v_add_nc_u32_e32 v25, 30, v0
	v_add_nc_u32_e32 v42, 0x96, v0
	s_waitcnt lgkmcnt(0)
	v_mul_lo_u32 v21, s11, v3
	v_mul_lo_u32 v22, s10, v4
	v_mad_u64_u32 v[16:17], null, s10, v3, 0
	v_mov_b32_e32 v6, v10
	v_mov_b32_e32 v10, v12
	v_mad_u64_u32 v[14:15], null, s20, v25, 0
	v_add_nc_u32_e32 v35, 0x64, v0
	v_add_nc_u32_e32 v37, 0x78, v0
	v_add3_u32 v17, v17, v22, v21
	v_mad_u64_u32 v[21:22], null, s21, v23, v[6:7]
	v_mad_u64_u32 v[22:23], null, s21, v24, v[10:11]
	v_mov_b32_e32 v12, v15
	s_delay_alu instid0(VALU_DEP_4)
	v_lshlrev_b64 v[15:16], 3, v[16:17]
	v_mov_b32_e32 v6, v18
	v_mad_u64_u32 v[33:34], null, s20, v35, 0
	v_mov_b32_e32 v10, v21
	v_mad_u64_u32 v[17:18], null, s21, v25, v[12:13]
	v_add_co_u32 v15, s0, s4, v15
	s_delay_alu instid0(VALU_DEP_1) | instskip(SKIP_2) | instid1(VALU_DEP_4)
	v_add_co_ci_u32_e64 v16, s0, s5, v16, s0
	v_lshlrev_b64 v[5:6], 3, v[5:6]
	v_mov_b32_e32 v12, v22
	v_add_co_u32 v45, s0, v15, v7
	s_delay_alu instid0(VALU_DEP_1) | instskip(SKIP_1) | instid1(VALU_DEP_3)
	v_add_co_ci_u32_e64 v46, s0, v16, v8, s0
	v_lshlrev_b64 v[7:8], 3, v[9:10]
	v_add_co_u32 v5, s0, v45, v5
	v_lshlrev_b64 v[10:11], 3, v[11:12]
	v_mov_b32_e32 v9, v20
	v_add_co_ci_u32_e64 v6, s0, v46, v6, s0
	v_add_co_u32 v7, s0, v45, v7
	v_dual_mov_b32 v15, v17 :: v_dual_add_nc_u32 v18, 50, v0
	v_add_co_ci_u32_e64 v8, s0, v46, v8, s0
	v_mad_u64_u32 v[16:17], null, s21, v26, v[9:10]
	v_add_co_u32 v9, s0, v45, v10
	s_delay_alu instid0(VALU_DEP_1) | instskip(SKIP_4) | instid1(VALU_DEP_4)
	v_add_co_ci_u32_e64 v10, s0, v46, v11, s0
	v_lshlrev_b64 v[11:12], 3, v[14:15]
	v_mad_u64_u32 v[14:15], null, s20, v18, 0
	v_mad_u64_u32 v[21:22], null, s20, v28, 0
	v_mov_b32_e32 v20, v16
	v_add_co_u32 v16, s0, v45, v11
	s_delay_alu instid0(VALU_DEP_1) | instskip(NEXT) | instid1(VALU_DEP_4)
	v_add_co_ci_u32_e64 v17, s0, v46, v12, s0
	v_dual_mov_b32 v11, v15 :: v_dual_mov_b32 v12, v22
	v_add_nc_u32_e32 v41, 0x8c, v0
	v_lshlrev_b64 v[23:24], 3, v[19:20]
	v_add_nc_u32_e32 v20, 0x46, v0
	s_delay_alu instid0(VALU_DEP_4)
	v_mad_u64_u32 v[25:26], null, s21, v18, v[11:12]
	v_mad_u64_u32 v[26:27], null, s21, v28, v[12:13]
	s_clause 0x3
	global_load_b64 v[5:6], v[5:6], off
	global_load_b64 v[11:12], v[7:8], off
	;; [unrolled: 1-line block ×4, first 2 shown]
	v_mad_u64_u32 v[27:28], null, s20, v20, 0
	v_add_co_u32 v7, s0, v45, v23
	v_mov_b32_e32 v15, v25
	v_add_co_ci_u32_e64 v8, s0, v46, v24, s0
	v_mov_b32_e32 v22, v26
	v_mov_b32_e32 v16, v28
	s_delay_alu instid0(VALU_DEP_4) | instskip(NEXT) | instid1(VALU_DEP_2)
	v_lshlrev_b64 v[14:15], 3, v[14:15]
	v_mad_u64_u32 v[23:24], null, s21, v20, v[16:17]
	s_delay_alu instid0(VALU_DEP_2) | instskip(SKIP_1) | instid1(VALU_DEP_4)
	v_add_co_u32 v20, s0, v45, v14
	v_lshlrev_b64 v[16:17], 3, v[21:22]
	v_add_co_ci_u32_e64 v21, s0, v46, v15, s0
	s_delay_alu instid0(VALU_DEP_4) | instskip(SKIP_1) | instid1(VALU_DEP_4)
	v_dual_mov_b32 v28, v23 :: v_dual_add_nc_u32 v15, 0x5a, v0
	v_mov_b32_e32 v14, v30
	v_add_co_u32 v16, s0, v45, v16
	s_delay_alu instid0(VALU_DEP_1) | instskip(NEXT) | instid1(VALU_DEP_4)
	v_add_co_ci_u32_e64 v17, s0, v46, v17, s0
	v_lshlrev_b64 v[22:23], 3, v[27:28]
	v_mad_u64_u32 v[26:27], null, s20, v15, 0
	v_mad_u64_u32 v[24:25], null, s21, v31, v[14:15]
	s_delay_alu instid0(VALU_DEP_3) | instskip(NEXT) | instid1(VALU_DEP_1)
	v_add_co_u32 v31, s0, v45, v22
	v_add_co_ci_u32_e64 v32, s0, v46, v23, s0
	s_delay_alu instid0(VALU_DEP_4) | instskip(NEXT) | instid1(VALU_DEP_4)
	v_mov_b32_e32 v14, v27
	v_mov_b32_e32 v30, v24
	s_delay_alu instid0(VALU_DEP_2)
	v_mad_u64_u32 v[27:28], null, s21, v15, v[14:15]
	s_clause 0x3
	global_load_b64 v[14:15], v[7:8], off
	global_load_b64 v[22:23], v[20:21], off
	;; [unrolled: 1-line block ×4, first 2 shown]
	v_dual_mov_b32 v7, v34 :: v_dual_add_nc_u32 v32, 0x6e, v0
	v_lshlrev_b64 v[16:17], 3, v[29:30]
	s_delay_alu instid0(VALU_DEP_2) | instskip(NEXT) | instid1(VALU_DEP_3)
	v_mad_u64_u32 v[28:29], null, s21, v35, v[7:8]
	v_mad_u64_u32 v[7:8], null, s20, v32, 0
	v_lshlrev_b64 v[26:27], 3, v[26:27]
	s_delay_alu instid0(VALU_DEP_4) | instskip(NEXT) | instid1(VALU_DEP_1)
	v_add_co_u32 v16, s0, v45, v16
	v_add_co_ci_u32_e64 v17, s0, v46, v17, s0
	v_mov_b32_e32 v34, v28
	v_mad_u64_u32 v[28:29], null, s20, v37, 0
	v_add_co_u32 v26, s0, v45, v26
	s_delay_alu instid0(VALU_DEP_3) | instskip(SKIP_1) | instid1(VALU_DEP_2)
	v_lshlrev_b64 v[33:34], 3, v[33:34]
	v_add_co_ci_u32_e64 v27, s0, v46, v27, s0
	v_add_co_u32 v33, s0, v45, v33
	s_delay_alu instid0(VALU_DEP_1) | instskip(SKIP_3) | instid1(VALU_DEP_2)
	v_add_co_ci_u32_e64 v34, s0, v46, v34, s0
	s_waitcnt vmcnt(4)
	v_mad_u64_u32 v[30:31], null, s21, v32, v[8:9]
	v_mad_u64_u32 v[31:32], null, s20, v40, 0
	;; [unrolled: 1-line block ×3, first 2 shown]
	s_delay_alu instid0(VALU_DEP_2) | instskip(SKIP_2) | instid1(VALU_DEP_3)
	v_mov_b32_e32 v29, v32
	v_mad_u64_u32 v[36:37], null, s20, v41, 0
	v_mov_b32_e32 v8, v30
	v_mad_u64_u32 v[38:39], null, s21, v40, v[29:30]
	;; [unrolled: 2-line block ×3, first 2 shown]
	v_mov_b32_e32 v30, v37
	v_lshlrev_b64 v[7:8], 3, v[7:8]
	s_delay_alu instid0(VALU_DEP_4) | instskip(SKIP_1) | instid1(VALU_DEP_4)
	v_lshlrev_b64 v[28:29], 3, v[28:29]
	v_mov_b32_e32 v32, v38
	v_mad_u64_u32 v[37:38], null, s21, v41, v[30:31]
	v_mov_b32_e32 v30, v40
	v_add_co_u32 v7, s0, v45, v7
	s_delay_alu instid0(VALU_DEP_1) | instskip(NEXT) | instid1(VALU_DEP_3)
	v_add_co_ci_u32_e64 v8, s0, v46, v8, s0
	v_mad_u64_u32 v[40:41], null, s21, v42, v[30:31]
	v_lshlrev_b64 v[30:31], 3, v[31:32]
	v_add_co_u32 v28, s0, v45, v28
	s_delay_alu instid0(VALU_DEP_1) | instskip(SKIP_1) | instid1(VALU_DEP_4)
	v_add_co_ci_u32_e64 v29, s0, v46, v29, s0
	v_lshlrev_b64 v[35:36], 3, v[36:37]
	v_add_co_u32 v41, s0, v45, v30
	s_delay_alu instid0(VALU_DEP_1) | instskip(SKIP_1) | instid1(VALU_DEP_4)
	v_add_co_ci_u32_e64 v42, s0, v46, v31, s0
	v_lshlrev_b64 v[30:31], 3, v[39:40]
	v_add_co_u32 v43, s0, v45, v35
	s_delay_alu instid0(VALU_DEP_1) | instskip(NEXT) | instid1(VALU_DEP_3)
	v_add_co_ci_u32_e64 v44, s0, v46, v36, s0
	v_add_co_u32 v45, s0, v45, v30
	s_delay_alu instid0(VALU_DEP_1)
	v_add_co_ci_u32_e64 v46, s0, v46, v31, s0
	s_clause 0x7
	global_load_b64 v[16:17], v[16:17], off
	global_load_b64 v[30:31], v[26:27], off
	;; [unrolled: 1-line block ×8, first 2 shown]
.LBB0_12:
	s_or_b32 exec_lo, exec_lo, s14
	v_mov_b32_e32 v40, v0
.LBB0_13:
	s_or_b32 exec_lo, exec_lo, s1
	s_waitcnt vmcnt(5)
	v_dual_sub_f32 v8, v18, v34 :: v_dual_sub_f32 v41, v19, v35
	s_waitcnt vmcnt(1)
	v_sub_f32_e32 v36, v24, v36
	v_dual_sub_f32 v30, v11, v30 :: v_dual_sub_f32 v31, v12, v31
	s_delay_alu instid0(VALU_DEP_3)
	v_fma_f32 v7, v18, 2.0, -v8
	v_fma_f32 v18, v19, 2.0, -v41
	v_dual_sub_f32 v19, v25, v37 :: v_dual_sub_f32 v32, v22, v32
	v_dual_sub_f32 v33, v23, v33 :: v_dual_sub_f32 v34, v14, v38
	v_sub_f32_e32 v35, v15, v39
	v_fma_f32 v24, v24, 2.0, -v36
	s_delay_alu instid0(VALU_DEP_4)
	v_fma_f32 v25, v25, 2.0, -v19
	v_fma_f32 v11, v11, 2.0, -v30
	;; [unrolled: 1-line block ×4, first 2 shown]
	v_dual_sub_f32 v26, v9, v26 :: v_dual_sub_f32 v37, v10, v27
	s_waitcnt vmcnt(0)
	v_dual_sub_f32 v28, v20, v28 :: v_dual_sub_f32 v27, v18, v25
	v_sub_f32_e32 v38, v21, v29
	v_fma_f32 v23, v23, 2.0, -v33
	v_fma_f32 v9, v9, 2.0, -v26
	;; [unrolled: 1-line block ×5, first 2 shown]
	v_sub_f32_e32 v21, v7, v24
	v_dual_add_f32 v19, v8, v19 :: v_dual_sub_f32 v24, v41, v36
	v_dual_sub_f32 v36, v11, v22 :: v_dual_add_f32 v33, v30, v33
	v_sub_f32_e32 v42, v12, v23
	s_delay_alu instid0(VALU_DEP_3) | instskip(NEXT) | instid1(VALU_DEP_4)
	v_fma_f32 v22, v8, 2.0, -v19
	v_fma_f32 v23, v41, 2.0, -v24
	s_delay_alu instid0(VALU_DEP_4)
	v_fma_f32 v8, v11, 2.0, -v36
	v_sub_f32_e32 v11, v31, v32
	v_fma_f32 v29, v12, 2.0, -v42
	v_fma_f32 v12, v30, 2.0, -v33
	v_sub_f32_e32 v30, v9, v20
	v_sub_f32_e32 v32, v10, v39
	v_dual_add_f32 v39, v26, v38 :: v_dual_sub_f32 v28, v37, v28
	v_mul_f32_e32 v41, 0x3f3504f3, v23
	v_fma_f32 v43, v31, 2.0, -v11
	v_fma_f32 v9, v9, 2.0, -v30
	s_delay_alu instid0(VALU_DEP_4) | instskip(SKIP_2) | instid1(VALU_DEP_4)
	v_fma_f32 v25, v26, 2.0, -v39
	v_fma_f32 v26, v37, 2.0, -v28
	v_dual_mul_f32 v38, 0x3f3504f3, v19 :: v_dual_fmamk_f32 v31, v28, 0x3f3504f3, v11
	v_sub_f32_e32 v23, v8, v9
	s_delay_alu instid0(VALU_DEP_4) | instskip(SKIP_3) | instid1(VALU_DEP_4)
	v_fmamk_f32 v19, v25, 0xbf3504f3, v12
	v_fma_f32 v10, v10, 2.0, -v32
	v_dual_fmamk_f32 v20, v26, 0xbf3504f3, v43 :: v_dual_add_f32 v9, v36, v32
	v_mul_u32_u24_e32 v13, 0xa0, v13
	v_fmac_f32_e32 v19, 0x3f3504f3, v26
	s_delay_alu instid0(VALU_DEP_4)
	v_sub_f32_e32 v44, v29, v10
	v_sub_f32_e32 v10, v42, v30
	v_dual_fmac_f32 v20, 0xbf3504f3, v25 :: v_dual_fmac_f32 v31, 0xbf3504f3, v39
	v_dual_fmamk_f32 v25, v39, 0x3f3504f3, v33 :: v_dual_mul_f32 v22, 0x3f3504f3, v22
	v_mul_f32_e32 v45, 0x3f3504f3, v24
	v_fma_f32 v24, v12, 2.0, -v19
	v_fma_f32 v12, v36, 2.0, -v9
	s_delay_alu instid0(VALU_DEP_4) | instskip(SKIP_2) | instid1(VALU_DEP_4)
	v_dual_fmac_f32 v25, 0x3f3504f3, v28 :: v_dual_mul_f32 v36, 0x3f3504f3, v9
	v_fma_f32 v26, v42, 2.0, -v10
	v_fma_f32 v30, v43, 2.0, -v20
	v_mul_f32_e32 v32, 0x3f3504f3, v12
	s_delay_alu instid0(VALU_DEP_4) | instskip(SKIP_4) | instid1(VALU_DEP_1)
	v_fma_f32 v28, v33, 2.0, -v25
	v_fma_f32 v33, v11, 2.0, -v31
	v_dual_mul_f32 v37, 0x3f3504f3, v26 :: v_dual_lshlrev_b32 v26, 2, v13
	v_mul_f32_e32 v42, 0x3f3504f3, v10
	v_cmp_gt_u32_e64 s0, 10, v0
	s_and_saveexec_b32 s1, s0
	s_cbranch_execz .LBB0_15
; %bb.14:
	v_sub_f32_e32 v9, v5, v16
	v_fma_f32 v10, v14, 2.0, -v34
	v_fma_f32 v7, v7, 2.0, -v21
	;; [unrolled: 1-line block ×3, first 2 shown]
	v_lshlrev_b32_e32 v43, 6, v0
	v_add_f32_e32 v11, v9, v35
	s_delay_alu instid0(VALU_DEP_1) | instskip(SKIP_1) | instid1(VALU_DEP_1)
	v_add_f32_e32 v12, v11, v38
	v_fma_f32 v5, v5, 2.0, -v9
	v_sub_f32_e32 v10, v5, v10
	s_delay_alu instid0(VALU_DEP_1) | instskip(SKIP_1) | instid1(VALU_DEP_2)
	v_dual_add_f32 v14, v45, v12 :: v_dual_add_f32 v39, v10, v27
	v_fma_f32 v5, v5, 2.0, -v10
	v_add_f32_e32 v12, v39, v36
	v_fma_f32 v13, v9, 2.0, -v11
	s_delay_alu instid0(VALU_DEP_4) | instskip(SKIP_1) | instid1(VALU_DEP_4)
	v_fmamk_f32 v8, v25, 0x3f6c835e, v14
	v_fma_f32 v52, v10, 2.0, -v39
	v_dual_sub_f32 v48, v5, v7 :: v_dual_add_f32 v7, v42, v12
	s_delay_alu instid0(VALU_DEP_3) | instskip(SKIP_1) | instid1(VALU_DEP_4)
	v_dual_sub_f32 v9, v13, v22 :: v_dual_fmac_f32 v8, 0x3ec3ef15, v31
	v_fma_f32 v50, v11, 2.0, -v14
	v_sub_f32_e32 v11, v52, v32
	s_delay_alu instid0(VALU_DEP_4) | instskip(NEXT) | instid1(VALU_DEP_4)
	v_fma_f32 v5, v5, 2.0, -v48
	v_add_f32_e32 v49, v41, v9
	v_fma_f32 v14, v14, 2.0, -v8
	v_fmamk_f32 v12, v28, 0xbec3ef15, v50
	v_add_f32_e32 v9, v48, v44
	v_add_f32_e32 v11, v37, v11
	v_fma_f32 v53, v13, 2.0, -v49
	v_fmamk_f32 v10, v19, 0x3ec3ef15, v49
	v_fmac_f32_e32 v12, 0x3f6c835e, v33
	v_sub_f32_e32 v46, v5, v16
	v_fma_f32 v13, v39, 2.0, -v7
	v_fmamk_f32 v47, v24, 0xbf6c835e, v53
	v_fmac_f32_e32 v10, 0x3f6c835e, v20
	v_fma_f32 v51, v50, 2.0, -v12
	v_fma_f32 v50, v52, 2.0, -v11
	;; [unrolled: 1-line block ×3, first 2 shown]
	v_fmac_f32_e32 v47, 0x3ec3ef15, v30
	v_add3_u32 v5, 0, v43, v26
	v_fma_f32 v48, v48, 2.0, -v9
	v_fma_f32 v49, v49, 2.0, -v10
	s_delay_alu instid0(VALU_DEP_4)
	v_fma_f32 v53, v53, 2.0, -v47
	ds_store_2addr_b64 v5, v[52:53], v[50:51] offset1:1
	ds_store_2addr_b64 v5, v[48:49], v[13:14] offset0:2 offset1:3
	ds_store_2addr_b64 v5, v[46:47], v[11:12] offset0:4 offset1:5
	;; [unrolled: 1-line block ×3, first 2 shown]
.LBB0_15:
	s_or_b32 exec_lo, exec_lo, s1
	v_lshlrev_b32_e32 v5, 2, v0
	s_waitcnt lgkmcnt(0)
	s_barrier
	buffer_gl0_inv
	v_add_nc_u32_e32 v46, 0, v5
	v_add3_u32 v43, 0, v26, v5
	s_delay_alu instid0(VALU_DEP_2)
	v_add_nc_u32_e32 v39, v46, v26
	ds_load_2addr_b32 v[11:12], v39 offset0:16 offset1:32
	ds_load_2addr_b32 v[7:8], v39 offset0:48 offset1:64
	;; [unrolled: 1-line block ×4, first 2 shown]
	ds_load_b32 v5, v43
	ds_load_b32 v16, v39 offset:576
	s_waitcnt lgkmcnt(0)
	s_barrier
	buffer_gl0_inv
	s_and_saveexec_b32 s1, s0
	s_cbranch_execz .LBB0_17
; %bb.16:
	v_sub_f32_e32 v17, v6, v17
	v_fma_f32 v15, v15, 2.0, -v35
	v_fma_f32 v18, v18, 2.0, -v27
	;; [unrolled: 1-line block ×3, first 2 shown]
	v_mul_u32_u24_e32 v44, 60, v0
	v_sub_f32_e32 v34, v17, v34
	s_delay_alu instid0(VALU_DEP_1) | instskip(NEXT) | instid1(VALU_DEP_1)
	v_add_f32_e32 v27, v34, v45
	v_sub_f32_e32 v38, v27, v38
	v_fma_f32 v6, v6, 2.0, -v17
	s_delay_alu instid0(VALU_DEP_1) | instskip(SKIP_1) | instid1(VALU_DEP_4)
	v_sub_f32_e32 v15, v6, v15
	v_fma_f32 v17, v17, 2.0, -v34
	v_fma_f32 v34, v34, 2.0, -v38
	s_delay_alu instid0(VALU_DEP_3) | instskip(NEXT) | instid1(VALU_DEP_3)
	v_fma_f32 v6, v6, 2.0, -v15
	v_sub_f32_e32 v35, v17, v41
	s_delay_alu instid0(VALU_DEP_2) | instskip(NEXT) | instid1(VALU_DEP_1)
	v_dual_sub_f32 v27, v6, v18 :: v_dual_fmamk_f32 v18, v31, 0x3f6c835e, v38
	v_dual_sub_f32 v35, v35, v22 :: v_dual_fmac_f32 v18, 0xbec3ef15, v25
	s_delay_alu instid0(VALU_DEP_1) | instskip(SKIP_1) | instid1(VALU_DEP_4)
	v_fma_f32 v45, v17, 2.0, -v35
	v_sub_f32_e32 v41, v15, v21
	v_fma_f32 v6, v6, 2.0, -v27
	v_dual_fmamk_f32 v21, v33, 0xbec3ef15, v34 :: v_dual_sub_f32 v22, v27, v23
	s_delay_alu instid0(VALU_DEP_4) | instskip(NEXT) | instid1(VALU_DEP_4)
	v_fmamk_f32 v30, v30, 0xbf6c835e, v45
	v_fma_f32 v15, v15, 2.0, -v41
	s_delay_alu instid0(VALU_DEP_4) | instskip(NEXT) | instid1(VALU_DEP_4)
	v_dual_add_f32 v42, v41, v42 :: v_dual_sub_f32 v29, v6, v29
	v_fmac_f32_e32 v21, 0xbf6c835e, v28
	s_delay_alu instid0(VALU_DEP_3) | instskip(SKIP_1) | instid1(VALU_DEP_4)
	v_dual_fmac_f32 v30, 0xbec3ef15, v24 :: v_dual_sub_f32 v31, v15, v37
	v_fmamk_f32 v23, v20, 0x3ec3ef15, v35
	v_sub_f32_e32 v17, v42, v36
	s_delay_alu instid0(VALU_DEP_4) | instskip(SKIP_1) | instid1(VALU_DEP_4)
	v_fma_f32 v34, v34, 2.0, -v21
	v_fma_f32 v25, v27, 2.0, -v22
	v_dual_sub_f32 v20, v31, v32 :: v_dual_fmac_f32 v23, 0xbf6c835e, v19
	v_fma_f32 v31, v6, 2.0, -v29
	v_fma_f32 v32, v45, 2.0, -v30
	v_add3_u32 v6, v46, v44, v26
	s_delay_alu instid0(VALU_DEP_4)
	v_fma_f32 v33, v15, 2.0, -v20
	v_fma_f32 v27, v41, 2.0, -v17
	v_fma_f32 v28, v38, 2.0, -v18
	v_fma_f32 v26, v35, 2.0, -v23
	ds_store_2addr_b64 v6, v[31:32], v[33:34] offset1:1
	ds_store_2addr_b64 v6, v[25:26], v[27:28] offset0:2 offset1:3
	ds_store_2addr_b64 v6, v[29:30], v[20:21] offset0:4 offset1:5
	;; [unrolled: 1-line block ×3, first 2 shown]
.LBB0_17:
	s_or_b32 exec_lo, exec_lo, s1
	s_waitcnt lgkmcnt(0)
	s_barrier
	buffer_gl0_inv
	s_and_saveexec_b32 s0, vcc_lo
	s_cbranch_execz .LBB0_19
; %bb.18:
	v_or_b32_e32 v71, 48, v40
	v_mul_u32_u24_e32 v0, 9, v0
	v_mul_lo_u32 v6, s3, v3
	v_mul_lo_u32 v15, s2, v4
	v_mad_u64_u32 v[35:36], null, s2, v3, 0
	v_mad_u64_u32 v[52:53], null, s12, v71, 0
	v_lshlrev_b32_e32 v0, 3, v0
	v_mad_u64_u32 v[46:47], null, s12, v40, 0
	v_or_b32_e32 v69, 16, v40
	v_add3_u32 v36, v36, v15, v6
	v_or_b32_e32 v75, 0x70, v40
	v_mov_b32_e32 v15, v53
	s_clause 0x4
	global_load_b128 v[17:20], v0, s[8:9]
	global_load_b128 v[21:24], v0, s[8:9] offset:16
	global_load_b128 v[25:28], v0, s[8:9] offset:48
	;; [unrolled: 1-line block ×3, first 2 shown]
	global_load_b64 v[33:34], v0, s[8:9] offset:64
	ds_load_2addr_b32 v[3:4], v39 offset0:16 offset1:32
	ds_load_2addr_b32 v[37:38], v39 offset0:48 offset1:64
	;; [unrolled: 1-line block ×4, first 2 shown]
	ds_load_b32 v76, v43
	ds_load_b32 v77, v39 offset:576
	v_or_b32_e32 v70, 32, v40
	v_or_b32_e32 v72, 64, v40
	;; [unrolled: 1-line block ×3, first 2 shown]
	v_mad_u64_u32 v[48:49], null, s12, v69, 0
	v_mad_u64_u32 v[60:61], null, s12, v75, 0
	v_or_b32_e32 v79, 0x90, v40
	v_mad_u64_u32 v[50:51], null, s12, v70, 0
	v_lshlrev_b64 v[0:1], 3, v[1:2]
	v_or_b32_e32 v74, 0x60, v40
	v_or_b32_e32 v78, 0x80, v40
	v_mad_u64_u32 v[54:55], null, s12, v72, 0
	v_mad_u64_u32 v[56:57], null, s12, v73, 0
	v_dual_mov_b32 v2, v47 :: v_dual_mov_b32 v47, v61
	v_mad_u64_u32 v[64:65], null, s12, v79, 0
	v_mad_u64_u32 v[58:59], null, s12, v74, 0
	;; [unrolled: 1-line block ×3, first 2 shown]
	s_waitcnt lgkmcnt(5)
	v_mad_u64_u32 v[66:67], null, s13, v40, v[2:3]
	v_dual_mov_b32 v2, v49 :: v_dual_mov_b32 v39, v55
	v_dual_mov_b32 v6, v51 :: v_dual_mov_b32 v51, v65
	v_lshlrev_b64 v[35:36], 3, v[35:36]
	v_dual_mov_b32 v40, v57 :: v_dual_mov_b32 v43, v59
	s_delay_alu instid0(VALU_DEP_4) | instskip(NEXT) | instid1(VALU_DEP_4)
	v_mad_u64_u32 v[67:68], null, s13, v69, v[2:3]
	v_mad_u64_u32 v[68:69], null, s13, v70, v[6:7]
	v_mad_u64_u32 v[69:70], null, s13, v71, v[15:16]
	v_mov_b32_e32 v49, v63
	v_mad_u64_u32 v[70:71], null, s13, v72, v[39:40]
	v_add_co_u32 v2, vcc_lo, s6, v35
	s_waitcnt lgkmcnt(3)
	v_mad_u64_u32 v[71:72], null, s13, v73, v[40:41]
	v_mad_u64_u32 v[72:73], null, s13, v75, v[47:48]
	v_add_co_ci_u32_e32 v6, vcc_lo, s7, v36, vcc_lo
	v_mov_b32_e32 v47, v66
	s_waitcnt lgkmcnt(2)
	v_mad_u64_u32 v[39:40], null, s13, v74, v[43:44]
	v_mad_u64_u32 v[73:74], null, s13, v78, v[49:50]
	v_add_co_u32 v2, vcc_lo, v2, v0
	v_mov_b32_e32 v49, v67
	v_add_co_ci_u32_e32 v6, vcc_lo, v6, v1, vcc_lo
	v_lshlrev_b64 v[0:1], 3, v[46:47]
	v_mad_u64_u32 v[74:75], null, s13, v79, v[51:52]
	v_mov_b32_e32 v51, v68
	v_lshlrev_b64 v[35:36], 3, v[48:49]
	v_mov_b32_e32 v53, v69
	v_mov_b32_e32 v59, v39
	v_add_co_u32 v0, vcc_lo, v2, v0
	v_mov_b32_e32 v55, v70
	v_add_co_ci_u32_e32 v1, vcc_lo, v6, v1, vcc_lo
	v_lshlrev_b64 v[46:47], 3, v[52:53]
	v_add_co_u32 v35, vcc_lo, v2, v35
	v_mov_b32_e32 v57, v71
	v_add_co_ci_u32_e32 v36, vcc_lo, v6, v36, vcc_lo
	v_mov_b32_e32 v63, v73
	v_mov_b32_e32 v61, v72
	;; [unrolled: 1-line block ×3, first 2 shown]
	s_waitcnt vmcnt(2)
	v_mul_f32_e32 v15, v14, v28
	v_mul_f32_e32 v28, v42, v28
	v_lshlrev_b64 v[39:40], 3, v[50:51]
	s_waitcnt vmcnt(1)
	v_mul_f32_e32 v43, v10, v32
	v_mul_f32_e32 v32, v45, v32
	v_lshlrev_b64 v[48:49], 3, v[54:55]
	v_lshlrev_b64 v[50:51], 3, v[56:57]
	;; [unrolled: 1-line block ×3, first 2 shown]
	v_add_co_u32 v39, vcc_lo, v2, v39
	v_add_co_ci_u32_e32 v40, vcc_lo, v6, v40, vcc_lo
	v_add_co_u32 v46, vcc_lo, v2, v46
	v_add_co_ci_u32_e32 v47, vcc_lo, v6, v47, vcc_lo
	v_add_co_u32 v48, vcc_lo, v2, v48
	s_waitcnt vmcnt(0)
	v_mul_f32_e32 v62, v16, v33
	v_mul_f32_e32 v16, v16, v34
	v_lshlrev_b64 v[52:53], 3, v[58:59]
	v_add_co_ci_u32_e32 v49, vcc_lo, v6, v49, vcc_lo
	v_lshlrev_b64 v[54:55], 3, v[60:61]
	v_add_co_u32 v50, vcc_lo, v2, v50
	v_add_co_ci_u32_e32 v51, vcc_lo, v6, v51, vcc_lo
	v_add_co_u32 v52, vcc_lo, v2, v52
	v_add_co_ci_u32_e32 v53, vcc_lo, v6, v53, vcc_lo
	v_lshlrev_b64 v[58:59], 3, v[64:65]
	v_add_co_u32 v54, vcc_lo, v2, v54
	v_add_co_ci_u32_e32 v55, vcc_lo, v6, v55, vcc_lo
	v_add_co_u32 v56, vcc_lo, v2, v56
	v_add_co_ci_u32_e32 v57, vcc_lo, v6, v57, vcc_lo
	;; [unrolled: 2-line block ×3, first 2 shown]
	v_mul_f32_e32 v2, v12, v20
	v_mul_f32_e32 v6, v8, v24
	;; [unrolled: 1-line block ×5, first 2 shown]
	v_dual_mul_f32 v61, v9, v29 :: v_dual_fmac_f32 v28, v14, v27
	v_dual_mul_f32 v63, v13, v25 :: v_dual_fmac_f32 v32, v10, v31
	v_fma_f32 v2, v4, v19, -v2
	v_fma_f32 v4, v38, v23, -v6
	v_dual_fmac_f32 v20, v12, v19 :: v_dual_mul_f32 v9, v9, v30
	v_dual_fmac_f32 v24, v8, v23 :: v_dual_mul_f32 v13, v13, v26
	v_fma_f32 v6, v42, v27, -v15
	v_fmac_f32_e32 v60, v37, v22
	v_fma_f32 v15, v45, v31, -v43
	v_mul_f32_e32 v7, v7, v22
	v_mul_f32_e32 v64, v11, v17
	s_waitcnt lgkmcnt(0)
	v_fmac_f32_e32 v62, v77, v34
	v_fmac_f32_e32 v63, v41, v26
	v_fma_f32 v8, v77, v33, -v16
	v_sub_f32_e32 v12, v6, v15
	v_fma_f32 v7, v37, v21, -v7
	v_sub_f32_e32 v14, v20, v28
	;; [unrolled: 2-line block ×3, first 2 shown]
	v_fma_f32 v10, v41, v25, -v13
	v_dual_fmac_f32 v61, v44, v30 :: v_dual_add_f32 v44, v2, v76
	v_mul_f32_e32 v11, v11, v18
	v_dual_fmac_f32 v64, v3, v18 :: v_dual_add_f32 v13, v4, v15
	s_delay_alu instid0(VALU_DEP_4) | instskip(NEXT) | instid1(VALU_DEP_3)
	v_dual_sub_f32 v18, v62, v63 :: v_dual_sub_f32 v25, v8, v10
	v_fma_f32 v3, v3, v17, -v11
	v_sub_f32_e32 v11, v2, v4
	v_dual_add_f32 v33, v2, v6 :: v_dual_sub_f32 v68, v24, v20
	v_dual_sub_f32 v42, v10, v8 :: v_dual_sub_f32 v17, v60, v61
	v_sub_f32_e32 v22, v9, v10
	v_dual_add_f32 v19, v61, v63 :: v_dual_sub_f32 v30, v4, v2
	v_dual_sub_f32 v23, v7, v9 :: v_dual_sub_f32 v34, v61, v60
	v_dual_sub_f32 v21, v7, v8 :: v_dual_add_f32 v26, v9, v10
	v_dual_sub_f32 v29, v61, v63 :: v_dual_add_f32 v38, v60, v62
	;; [unrolled: 1-line block ×4, first 2 shown]
	v_dual_sub_f32 v41, v9, v7 :: v_dual_sub_f32 v2, v2, v6
	v_add_f32_e32 v43, v7, v8
	v_add_f32_e32 v7, v7, v3
	v_sub_f32_e32 v45, v20, v24
	v_dual_add_f32 v20, v5, v20 :: v_dual_sub_f32 v27, v60, v62
	v_add_f32_e32 v60, v60, v64
	v_add_f32_e32 v11, v11, v12
	v_fma_f32 v12, -0.5, v13, v76
	v_add_f32_e32 v13, v17, v18
	v_fma_f32 v17, -0.5, v19, v64
	;; [unrolled: 2-line block ×3, first 2 shown]
	v_sub_f32_e32 v65, v28, v32
	v_sub_f32_e32 v67, v4, v15
	;; [unrolled: 1-line block ×3, first 2 shown]
	v_fma_f32 v19, -0.5, v26, v3
	v_add_f32_e32 v26, v34, v37
	v_fma_f32 v33, -0.5, v43, v3
	v_add_f32_e32 v23, v30, v31
	v_fma_f32 v30, -0.5, v38, v64
	v_dual_add_f32 v3, v4, v44 :: v_dual_add_f32 v4, v9, v7
	v_fma_f32 v34, -0.5, v66, v5
	v_add_f32_e32 v31, v41, v42
	v_fma_f32 v37, -0.5, v70, v5
	v_dual_fmamk_f32 v38, v21, 0x3f737871, v17 :: v_dual_add_f32 v5, v20, v24
	v_add_f32_e32 v20, v61, v60
	v_fmamk_f32 v24, v14, 0xbf737871, v12
	v_fmamk_f32 v42, v16, 0x3f737871, v25
	s_delay_alu instid0(VALU_DEP_4)
	v_dual_fmac_f32 v38, 0x3f167918, v22 :: v_dual_add_f32 v7, v45, v65
	v_fmac_f32_e32 v12, 0x3f737871, v14
	v_fmamk_f32 v44, v29, 0x3f737871, v33
	v_add_f32_e32 v4, v10, v4
	v_fmamk_f32 v43, v22, 0xbf737871, v30
	v_dual_fmac_f32 v30, 0x3f737871, v22 :: v_dual_add_f32 v3, v15, v3
	v_fmac_f32_e32 v24, 0xbf167918, v16
	v_fmamk_f32 v41, v27, 0xbf737871, v19
	v_dual_fmamk_f32 v10, v2, 0x3f737871, v34 :: v_dual_add_f32 v5, v5, v32
	v_fmac_f32_e32 v42, 0xbf167918, v14
	v_fmac_f32_e32 v25, 0xbf737871, v16
	v_dual_add_f32 v15, v63, v20 :: v_dual_fmac_f32 v44, 0xbf167918, v27
	v_dual_add_f32 v9, v68, v69 :: v_dual_fmac_f32 v34, 0xbf737871, v2
	v_fmac_f32_e32 v33, 0xbf737871, v29
	v_fmac_f32_e32 v12, 0x3f167918, v16
	v_dual_add_f32 v6, v6, v3 :: v_dual_fmac_f32 v41, 0xbf167918, v29
	s_delay_alu instid0(VALU_DEP_4)
	v_fmac_f32_e32 v34, 0xbf167918, v67
	v_dual_add_f32 v4, v8, v4 :: v_dual_fmac_f32 v43, 0x3f167918, v21
	v_fmac_f32_e32 v10, 0x3f167918, v67
	v_dual_add_f32 v8, v28, v5 :: v_dual_fmac_f32 v25, 0x3f167918, v14
	v_add_f32_e32 v14, v62, v15
	v_fmac_f32_e32 v19, 0x3f737871, v27
	v_fmac_f32_e32 v17, 0xbf737871, v21
	v_fmac_f32_e32 v30, 0xbf167918, v21
	v_dual_fmac_f32 v24, 0x3e9e377a, v11 :: v_dual_fmac_f32 v41, 0x3e9e377a, v18
	v_dual_fmac_f32 v12, 0x3e9e377a, v11 :: v_dual_sub_f32 v3, v6, v4
	v_dual_fmac_f32 v10, 0x3e9e377a, v7 :: v_dual_add_f32 v5, v6, v4
	v_dual_add_f32 v4, v8, v14 :: v_dual_fmac_f32 v19, 0x3f167918, v29
	v_fmac_f32_e32 v44, 0x3e9e377a, v31
	v_dual_fmac_f32 v25, 0x3e9e377a, v23 :: v_dual_fmac_f32 v30, 0x3e9e377a, v26
	v_dual_fmac_f32 v38, 0x3e9e377a, v13 :: v_dual_fmac_f32 v43, 0x3e9e377a, v26
	s_delay_alu instid0(VALU_DEP_4) | instskip(NEXT) | instid1(VALU_DEP_4)
	v_fmac_f32_e32 v19, 0x3e9e377a, v18
	v_dual_fmamk_f32 v45, v67, 0xbf737871, v37 :: v_dual_mul_f32 v20, 0xbf737871, v44
	v_fmac_f32_e32 v37, 0x3f737871, v67
	v_fmac_f32_e32 v34, 0x3e9e377a, v7
	s_delay_alu instid0(VALU_DEP_4) | instskip(NEXT) | instid1(VALU_DEP_4)
	v_mul_f32_e32 v16, 0x3f4f1bbd, v19
	v_fmac_f32_e32 v45, 0x3f167918, v2
	s_delay_alu instid0(VALU_DEP_4)
	v_dual_mul_f32 v18, 0xbf167918, v41 :: v_dual_fmac_f32 v37, 0xbf167918, v2
	v_sub_f32_e32 v2, v8, v14
	v_fmac_f32_e32 v17, 0xbf167918, v22
	v_fmac_f32_e32 v42, 0x3e9e377a, v23
	v_mul_f32_e32 v8, 0xbf4f1bbd, v41
	v_fmac_f32_e32 v33, 0x3f167918, v27
	v_fmac_f32_e32 v37, 0x3e9e377a, v9
	;; [unrolled: 1-line block ×3, first 2 shown]
	v_mul_f32_e32 v19, 0xbf167918, v19
	v_dual_mul_f32 v13, 0xbe9e377a, v44 :: v_dual_fmac_f32 v20, 0xbe9e377a, v43
	v_fmac_f32_e32 v8, 0x3f167918, v38
	global_store_b64 v[0:1], v[4:5], off
	v_fmac_f32_e32 v19, 0x3f4f1bbd, v17
	v_fmac_f32_e32 v16, 0x3f167918, v17
	;; [unrolled: 1-line block ×4, first 2 shown]
	v_dual_fmac_f32 v18, 0xbf4f1bbd, v38 :: v_dual_sub_f32 v1, v24, v8
	s_delay_alu instid0(VALU_DEP_4) | instskip(NEXT) | instid1(VALU_DEP_3)
	v_sub_f32_e32 v9, v12, v16
	v_dual_sub_f32 v4, v45, v20 :: v_dual_mul_f32 v21, 0xbf737871, v33
	v_dual_add_f32 v17, v12, v16 :: v_dual_add_f32 v16, v34, v19
	v_mul_f32_e32 v14, 0x3e9e377a, v33
	s_delay_alu instid0(VALU_DEP_3) | instskip(SKIP_1) | instid1(VALU_DEP_3)
	v_dual_add_f32 v12, v45, v20 :: v_dual_fmac_f32 v21, 0x3e9e377a, v30
	v_dual_fmac_f32 v13, 0x3f737871, v43 :: v_dual_sub_f32 v0, v10, v18
	v_dual_fmac_f32 v14, 0x3f737871, v30 :: v_dual_add_f32 v11, v24, v8
	v_add_f32_e32 v10, v10, v18
	s_delay_alu instid0(VALU_DEP_4) | instskip(NEXT) | instid1(VALU_DEP_3)
	v_sub_f32_e32 v6, v37, v21
	v_dual_sub_f32 v8, v34, v19 :: v_dual_sub_f32 v7, v25, v14
	v_add_f32_e32 v15, v25, v14
	v_add_f32_e32 v14, v37, v21
	v_sub_f32_e32 v5, v42, v13
	v_add_f32_e32 v13, v42, v13
	s_clause 0x8
	global_store_b64 v[35:36], v[16:17], off
	global_store_b64 v[39:40], v[14:15], off
	;; [unrolled: 1-line block ×9, first 2 shown]
.LBB0_19:
	s_nop 0
	s_sendmsg sendmsg(MSG_DEALLOC_VGPRS)
	s_endpgm
	.section	.rodata,"a",@progbits
	.p2align	6, 0x0
	.amdhsa_kernel fft_rtc_back_len160_factors_16_10_wgs_256_tpt_16_halfLds_sp_op_CI_CI_sbrr_dirReg
		.amdhsa_group_segment_fixed_size 0
		.amdhsa_private_segment_fixed_size 0
		.amdhsa_kernarg_size 104
		.amdhsa_user_sgpr_count 15
		.amdhsa_user_sgpr_dispatch_ptr 0
		.amdhsa_user_sgpr_queue_ptr 0
		.amdhsa_user_sgpr_kernarg_segment_ptr 1
		.amdhsa_user_sgpr_dispatch_id 0
		.amdhsa_user_sgpr_private_segment_size 0
		.amdhsa_wavefront_size32 1
		.amdhsa_uses_dynamic_stack 0
		.amdhsa_enable_private_segment 0
		.amdhsa_system_sgpr_workgroup_id_x 1
		.amdhsa_system_sgpr_workgroup_id_y 0
		.amdhsa_system_sgpr_workgroup_id_z 0
		.amdhsa_system_sgpr_workgroup_info 0
		.amdhsa_system_vgpr_workitem_id 0
		.amdhsa_next_free_vgpr 80
		.amdhsa_next_free_sgpr 31
		.amdhsa_reserve_vcc 1
		.amdhsa_float_round_mode_32 0
		.amdhsa_float_round_mode_16_64 0
		.amdhsa_float_denorm_mode_32 3
		.amdhsa_float_denorm_mode_16_64 3
		.amdhsa_dx10_clamp 1
		.amdhsa_ieee_mode 1
		.amdhsa_fp16_overflow 0
		.amdhsa_workgroup_processor_mode 1
		.amdhsa_memory_ordered 1
		.amdhsa_forward_progress 0
		.amdhsa_shared_vgpr_count 0
		.amdhsa_exception_fp_ieee_invalid_op 0
		.amdhsa_exception_fp_denorm_src 0
		.amdhsa_exception_fp_ieee_div_zero 0
		.amdhsa_exception_fp_ieee_overflow 0
		.amdhsa_exception_fp_ieee_underflow 0
		.amdhsa_exception_fp_ieee_inexact 0
		.amdhsa_exception_int_div_zero 0
	.end_amdhsa_kernel
	.text
.Lfunc_end0:
	.size	fft_rtc_back_len160_factors_16_10_wgs_256_tpt_16_halfLds_sp_op_CI_CI_sbrr_dirReg, .Lfunc_end0-fft_rtc_back_len160_factors_16_10_wgs_256_tpt_16_halfLds_sp_op_CI_CI_sbrr_dirReg
                                        ; -- End function
	.section	.AMDGPU.csdata,"",@progbits
; Kernel info:
; codeLenInByte = 5932
; NumSgprs: 33
; NumVgprs: 80
; ScratchSize: 0
; MemoryBound: 0
; FloatMode: 240
; IeeeMode: 1
; LDSByteSize: 0 bytes/workgroup (compile time only)
; SGPRBlocks: 4
; VGPRBlocks: 9
; NumSGPRsForWavesPerEU: 33
; NumVGPRsForWavesPerEU: 80
; Occupancy: 16
; WaveLimiterHint : 1
; COMPUTE_PGM_RSRC2:SCRATCH_EN: 0
; COMPUTE_PGM_RSRC2:USER_SGPR: 15
; COMPUTE_PGM_RSRC2:TRAP_HANDLER: 0
; COMPUTE_PGM_RSRC2:TGID_X_EN: 1
; COMPUTE_PGM_RSRC2:TGID_Y_EN: 0
; COMPUTE_PGM_RSRC2:TGID_Z_EN: 0
; COMPUTE_PGM_RSRC2:TIDIG_COMP_CNT: 0
	.text
	.p2alignl 7, 3214868480
	.fill 96, 4, 3214868480
	.type	__hip_cuid_598c396336c121b5,@object ; @__hip_cuid_598c396336c121b5
	.section	.bss,"aw",@nobits
	.globl	__hip_cuid_598c396336c121b5
__hip_cuid_598c396336c121b5:
	.byte	0                               ; 0x0
	.size	__hip_cuid_598c396336c121b5, 1

	.ident	"AMD clang version 19.0.0git (https://github.com/RadeonOpenCompute/llvm-project roc-6.4.0 25133 c7fe45cf4b819c5991fe208aaa96edf142730f1d)"
	.section	".note.GNU-stack","",@progbits
	.addrsig
	.addrsig_sym __hip_cuid_598c396336c121b5
	.amdgpu_metadata
---
amdhsa.kernels:
  - .args:
      - .actual_access:  read_only
        .address_space:  global
        .offset:         0
        .size:           8
        .value_kind:     global_buffer
      - .offset:         8
        .size:           8
        .value_kind:     by_value
      - .actual_access:  read_only
        .address_space:  global
        .offset:         16
        .size:           8
        .value_kind:     global_buffer
      - .actual_access:  read_only
        .address_space:  global
        .offset:         24
        .size:           8
        .value_kind:     global_buffer
      - .actual_access:  read_only
        .address_space:  global
        .offset:         32
        .size:           8
        .value_kind:     global_buffer
      - .offset:         40
        .size:           8
        .value_kind:     by_value
      - .actual_access:  read_only
        .address_space:  global
        .offset:         48
        .size:           8
        .value_kind:     global_buffer
      - .actual_access:  read_only
        .address_space:  global
        .offset:         56
        .size:           8
        .value_kind:     global_buffer
      - .offset:         64
        .size:           4
        .value_kind:     by_value
      - .actual_access:  read_only
        .address_space:  global
        .offset:         72
        .size:           8
        .value_kind:     global_buffer
      - .actual_access:  read_only
        .address_space:  global
        .offset:         80
        .size:           8
        .value_kind:     global_buffer
      - .actual_access:  read_only
        .address_space:  global
        .offset:         88
        .size:           8
        .value_kind:     global_buffer
      - .actual_access:  write_only
        .address_space:  global
        .offset:         96
        .size:           8
        .value_kind:     global_buffer
    .group_segment_fixed_size: 0
    .kernarg_segment_align: 8
    .kernarg_segment_size: 104
    .language:       OpenCL C
    .language_version:
      - 2
      - 0
    .max_flat_workgroup_size: 256
    .name:           fft_rtc_back_len160_factors_16_10_wgs_256_tpt_16_halfLds_sp_op_CI_CI_sbrr_dirReg
    .private_segment_fixed_size: 0
    .sgpr_count:     33
    .sgpr_spill_count: 0
    .symbol:         fft_rtc_back_len160_factors_16_10_wgs_256_tpt_16_halfLds_sp_op_CI_CI_sbrr_dirReg.kd
    .uniform_work_group_size: 1
    .uses_dynamic_stack: false
    .vgpr_count:     80
    .vgpr_spill_count: 0
    .wavefront_size: 32
    .workgroup_processor_mode: 1
amdhsa.target:   amdgcn-amd-amdhsa--gfx1100
amdhsa.version:
  - 1
  - 2
...

	.end_amdgpu_metadata
